;; amdgpu-corpus repo=zjin-lcf/HeCBench kind=compiled arch=gfx906 opt=O3
	.amdgcn_target "amdgcn-amd-amdhsa--gfx906"
	.amdhsa_code_object_version 6
	.text
	.protected	_Z19tausworthe_lookbackjPKjPfS1_PKfS3_S3_S3_S3_S3_S3_ ; -- Begin function _Z19tausworthe_lookbackjPKjPfS1_PKfS3_S3_S3_S3_S3_S3_
	.globl	_Z19tausworthe_lookbackjPKjPfS1_PKfS3_S3_S3_S3_S3_S3_
	.p2align	8
	.type	_Z19tausworthe_lookbackjPKjPfS1_PKfS3_S3_S3_S3_S3_S3_,@function
_Z19tausworthe_lookbackjPKjPfS1_PKfS3_S3_S3_S3_S3_S3_: ; @_Z19tausworthe_lookbackjPKjPfS1_PKfS3_S3_S3_S3_S3_S3_
; %bb.0:
	s_load_dword s7, s[4:5], 0x64
	s_load_dwordx4 s[0:3], s[4:5], 0x48
	s_load_dwordx8 s[16:23], s[4:5], 0x28
	s_load_dwordx8 s[8:15], s[4:5], 0x8
	v_mov_b32_e32 v4, 0
	s_waitcnt lgkmcnt(0)
	s_and_b32 s7, s7, 0xffff
	s_mul_i32 s6, s6, s7
	v_add_u32_e32 v3, s6, v0
	v_lshlrev_b64 v[1:2], 2, v[3:4]
	v_add_u32_e32 v5, 0x100000, v3
	v_mov_b32_e32 v6, v4
	v_mov_b32_e32 v7, s9
	v_add_co_u32_e32 v9, vcc, s8, v1
	v_lshlrev_b64 v[5:6], 2, v[5:6]
	v_addc_co_u32_e32 v10, vcc, v7, v2, vcc
	v_add_co_u32_e32 v11, vcc, s8, v5
	v_addc_co_u32_e32 v12, vcc, v7, v6, vcc
	v_add_u32_e32 v5, 0x200000, v3
	v_mov_b32_e32 v6, v4
	v_lshlrev_b64 v[5:6], 2, v[5:6]
	v_add_u32_e32 v3, 0x300000, v3
	v_add_co_u32_e32 v13, vcc, s8, v5
	v_addc_co_u32_e32 v14, vcc, v7, v6, vcc
	v_lshlrev_b64 v[5:6], 2, v[3:4]
	v_mov_b32_e32 v3, s15
	v_add_co_u32_e32 v15, vcc, s8, v5
	v_addc_co_u32_e32 v16, vcc, v7, v6, vcc
	global_load_dword v7, v[9:10], off
	global_load_dword v5, v[11:12], off
	;; [unrolled: 1-line block ×4, first 2 shown]
	v_add_co_u32_e32 v9, vcc, s14, v1
	v_addc_co_u32_e32 v10, vcc, v3, v2, vcc
	global_load_dword v6, v[9:10], off
	v_mov_b32_e32 v3, s17
	v_add_co_u32_e32 v9, vcc, s16, v1
	v_addc_co_u32_e32 v10, vcc, v3, v2, vcc
	global_load_dword v9, v[9:10], off
	v_mov_b32_e32 v3, s19
	;; [unrolled: 4-line block ×6, first 2 shown]
	v_add_co_u32_e32 v14, vcc, s2, v1
	v_addc_co_u32_e32 v15, vcc, v3, v2, vcc
	global_load_dword v14, v[14:15], off
	s_load_dword s20, s[4:5], 0x0
	v_lshlrev_b32_e32 v15, 2, v0
	s_mov_b32 s23, 1
	s_movk_i32 s24, 0xe000
	s_movk_i32 s25, 0xff80
	s_waitcnt lgkmcnt(0)
	s_cmp_lg_u32 s20, 0
	s_cselect_b64 s[0:1], -1, 0
	s_and_b32 s21, s20, 7
	s_cmp_gt_u32 s20, 7
	s_cselect_b64 s[14:15], -1, 0
	s_and_b32 s22, s20, -8
	s_cmp_lg_u32 s21, 0
	v_cndmask_b32_e64 v3, 0, 1, s[0:1]
	s_cselect_b64 s[16:17], -1, 0
	v_cmp_ne_u32_e64 s[0:1], 1, v3
	s_mov_b32 s26, 0xffe00000
	s_mov_b32 s27, 0x19660d
	;; [unrolled: 1-line block ×3, first 2 shown]
	s_brev_b32 s29, 18
	s_mov_b32 s30, 0x800000
	s_mov_b32 s31, 0xfe5163ab
	;; [unrolled: 1-line block ×10, first 2 shown]
	v_mov_b32_e32 v18, 0xbe2aaa9d
	v_mov_b32_e32 v19, 0x3d2aabf7
	v_mov_b32_e32 v20, 0xbf000004
	s_mov_b32 s41, 0x3f317217
	s_mov_b32 s42, 0xf800000
	v_mov_b32_e32 v21, 0x260
	s_mov_b32 s43, 0x3fb8aa3b
	s_mov_b32 s44, 0xc2ce8ed0
	;; [unrolled: 1-line block ×3, first 2 shown]
	v_not_b32_e32 v22, 63
	v_not_b32_e32 v23, 31
	v_mov_b32_e32 v24, 0x7fc00000
	v_mov_b32_e32 v25, 0x41b17218
	;; [unrolled: 1-line block ×6, first 2 shown]
	s_and_b64 vcc, exec, s[0:1]
	s_cbranch_vccz .LBB0_3
	s_branch .LBB0_2
.LBB0_1:
	v_mov_b32_e32 v34, v29
	s_and_b64 vcc, exec, s[0:1]
	s_cbranch_vccz .LBB0_3
.LBB0_2:
	v_mov_b32_e32 v3, v4
	s_waitcnt vmcnt(7)
	v_mov_b32_e32 v29, v34
	s_branch .LBB0_23
.LBB0_3:
	s_mov_b32 s46, 0
	v_mov_b32_e32 v31, v15
	v_mov_b32_e32 v30, v0
	s_waitcnt vmcnt(1)
	v_mov_b32_e32 v28, v13
	v_mov_b32_e32 v32, v9
	;; [unrolled: 1-line block ×3, first 2 shown]
                                        ; implicit-def: $vgpr3
.LBB0_4:                                ; =>This Inner Loop Header: Depth=1
	s_bitcmp1_b32 s46, 0
	s_cselect_b64 s[2:3], -1, 0
	s_and_b64 vcc, exec, s[2:3]
	ds_write_b32 v31, v28
	s_cbranch_vccnz .LBB0_11
; %bb.5:                                ;   in Loop: Header=BB0_4 Depth=1
	v_lshlrev_b32_e32 v3, 13, v7
	v_xor_b32_e32 v3, v3, v7
	v_lshrrev_b32_e32 v3, 19, v3
	v_lshlrev_b32_e32 v7, 12, v7
	v_and_or_b32 v37, v7, s24, v3
	v_lshlrev_b32_e32 v3, 2, v5
	v_xor_b32_e32 v3, v3, v5
	v_lshrrev_b32_e32 v3, 25, v3
	v_lshlrev_b32_e32 v29, 4, v5
	v_and_or_b32 v38, v29, s25, v3
	;; [unrolled: 5-line block ×3, first 2 shown]
	v_lshlrev_b32_e32 v8, 13, v37
	v_xor_b32_e32 v7, v8, v7
	v_lshlrev_b32_e32 v5, 6, v5
	v_lshrrev_b32_e32 v7, 19, v7
	v_lshlrev_b32_e32 v8, 12, v37
	v_xor_b32_e32 v5, v5, v29
	v_mul_lo_u32 v29, v34, s28
	v_and_or_b32 v7, v8, s24, v7
	v_lshrrev_b32_e32 v5, 25, v5
	v_lshlrev_b32_e32 v8, 4, v38
	v_and_or_b32 v5, v8, s25, v5
	v_lshlrev_b32_e32 v8, 3, v36
	v_xor_b32_e32 v8, v8, v36
	v_lshrrev_b32_e32 v8, 11, v8
	v_lshlrev_b32_e32 v3, 6, v3
	v_add_u32_e32 v29, 0x47502932, v29
	v_and_or_b32 v8, v3, s26, v8
	v_xor_b32_e32 v3, v7, v29
	v_xor_b32_e32 v3, v3, v5
	;; [unrolled: 1-line block ×3, first 2 shown]
	v_cvt_f32_u32_e32 v3, v3
                                        ; implicit-def: $vgpr40
	v_mul_f32_e32 v3, 0x2f800000, v3
	v_mul_f32_e32 v35, 0x40c90fdb, v3
	v_lshrrev_b32_e32 v3, 23, v35
	v_and_b32_e32 v39, 0x7fffff, v35
	v_cmp_ngt_f32_e32 vcc, s29, v35
	v_add_u32_e32 v42, 0xffffff88, v3
	v_or_b32_e32 v41, 0x800000, v39
                                        ; implicit-def: $vgpr39
	s_and_saveexec_b64 s[2:3], vcc
	s_xor_b64 s[18:19], exec, s[2:3]
	s_cbranch_execz .LBB0_7
; %bb.6:                                ;   in Loop: Header=BB0_4 Depth=1
	v_mad_u64_u32 v[39:40], s[2:3], v41, s31, 0
	v_mov_b32_e32 v3, v40
	v_mad_u64_u32 v[43:44], s[2:3], v41, s33, v[3:4]
	v_mov_b32_e32 v3, v44
	;; [unrolled: 2-line block ×3, first 2 shown]
	v_mad_u64_u32 v[45:46], s[2:3], v41, s35, v[3:4]
	v_cmp_lt_u32_e64 s[2:3], 63, v42
	v_cndmask_b32_e64 v3, 0, v22, s[2:3]
	v_add_u32_e32 v40, v3, v42
	v_mov_b32_e32 v3, v46
	v_mad_u64_u32 v[46:47], s[4:5], v41, s36, v[3:4]
	v_cmp_lt_u32_e64 s[4:5], 31, v40
	v_cndmask_b32_e64 v3, 0, v23, s[4:5]
	v_add_u32_e32 v40, v3, v40
	v_mov_b32_e32 v3, v47
	;; [unrolled: 5-line block ×3, first 2 shown]
	v_mad_u64_u32 v[48:49], s[8:9], v41, s38, v[3:4]
	v_cndmask_b32_e64 v3, v46, v44, s[2:3]
	v_cndmask_b32_e64 v50, v47, v45, s[2:3]
	;; [unrolled: 1-line block ×10, first 2 shown]
	v_sub_u32_e32 v48, 32, v40
	v_cndmask_b32_e64 v3, v3, v43, s[4:5]
	v_alignbit_b32 v49, v46, v47, v48
	v_cmp_eq_u32_e64 s[8:9], 0, v40
	v_cndmask_b32_e64 v45, v51, v3, s[6:7]
	v_cndmask_b32_e64 v40, v49, v46, s[8:9]
	v_alignbit_b32 v46, v47, v45, v48
	v_cndmask_b32_e64 v39, v44, v39, s[2:3]
	v_cndmask_b32_e64 v46, v46, v47, s[8:9]
	v_bfe_u32 v50, v40, 29, 1
	v_cndmask_b32_e64 v39, v43, v39, s[4:5]
	v_alignbit_b32 v47, v40, v46, 30
	v_sub_u32_e32 v51, 0, v50
	v_cndmask_b32_e64 v3, v3, v39, s[6:7]
	v_xor_b32_e32 v47, v47, v51
	v_alignbit_b32 v39, v45, v3, v48
	v_cndmask_b32_e64 v39, v39, v45, s[8:9]
	v_ffbh_u32_e32 v44, v47
	v_alignbit_b32 v43, v46, v39, 30
	v_min_u32_e32 v44, 32, v44
	v_alignbit_b32 v3, v39, v3, 30
	v_xor_b32_e32 v43, v43, v51
	v_sub_u32_e32 v45, 31, v44
	v_xor_b32_e32 v3, v3, v51
	v_alignbit_b32 v46, v47, v43, v45
	v_alignbit_b32 v3, v43, v3, v45
	;; [unrolled: 1-line block ×3, first 2 shown]
	v_ffbh_u32_e32 v43, v39
	v_min_u32_e32 v43, 32, v43
	v_lshrrev_b32_e32 v49, 29, v40
	v_not_b32_e32 v45, v43
	v_alignbit_b32 v3, v39, v3, v45
	v_lshlrev_b32_e32 v39, 31, v49
	v_or_b32_e32 v45, 0x33000000, v39
	v_add_lshl_u32 v43, v43, v44, 23
	v_lshrrev_b32_e32 v3, 9, v3
	v_sub_u32_e32 v43, v45, v43
	v_or_b32_e32 v39, 0.5, v39
	v_lshlrev_b32_e32 v44, 23, v44
	v_or_b32_e32 v3, v43, v3
	v_lshrrev_b32_e32 v43, 9, v46
	v_sub_u32_e32 v39, v39, v44
	v_or_b32_e32 v39, v43, v39
	v_mul_f32_e32 v43, 0x3fc90fda, v39
	v_fma_f32 v44, v39, s39, -v43
	v_fmac_f32_e32 v44, 0x33a22168, v39
	v_fmac_f32_e32 v44, 0x3fc90fda, v3
	v_lshrrev_b32_e32 v3, 30, v40
	v_add_f32_e32 v39, v43, v44
	v_add_u32_e32 v40, v50, v3
.LBB0_7:                                ;   in Loop: Header=BB0_4 Depth=1
	s_or_saveexec_b64 s[2:3], s[18:19]
	v_mul_f32_e32 v3, 0x3f22f983, v35
	v_rndne_f32_e32 v44, v3
	s_xor_b64 exec, exec, s[2:3]
; %bb.8:                                ;   in Loop: Header=BB0_4 Depth=1
	v_mov_b32_e32 v39, v35
	v_cvt_i32_f32_e32 v40, v44
	v_fmac_f32_e32 v39, 0xbfc90fda, v44
	v_fmac_f32_e32 v39, 0xb3a22168, v44
	v_fmac_f32_e32 v39, 0xa7c234c4, v44
; %bb.9:                                ;   in Loop: Header=BB0_4 Depth=1
	s_or_b64 exec, exec, s[2:3]
                                        ; implicit-def: $vgpr43
                                        ; implicit-def: $vgpr3
	s_and_saveexec_b64 s[2:3], vcc
	s_xor_b64 s[8:9], exec, s[2:3]
	s_cbranch_execz .LBB0_12
; %bb.10:                               ;   in Loop: Header=BB0_4 Depth=1
	v_mad_u64_u32 v[43:44], s[2:3], v41, s31, 0
	v_cmp_lt_u32_e32 vcc, 63, v42
	v_mov_b32_e32 v3, v44
	v_mad_u64_u32 v[44:45], s[2:3], v41, s33, v[3:4]
	v_mov_b32_e32 v3, v45
	v_mad_u64_u32 v[45:46], s[2:3], v41, s34, v[3:4]
	;; [unrolled: 2-line block ×3, first 2 shown]
	v_cndmask_b32_e32 v3, 0, v22, vcc
	v_add_u32_e32 v42, v3, v42
	v_mov_b32_e32 v3, v47
	v_mad_u64_u32 v[47:48], s[2:3], v41, s36, v[3:4]
	v_cmp_lt_u32_e64 s[2:3], 31, v42
	v_cndmask_b32_e64 v3, 0, v23, s[2:3]
	v_add_u32_e32 v42, v3, v42
	v_mov_b32_e32 v3, v48
	v_mad_u64_u32 v[48:49], s[4:5], v41, s37, v[3:4]
	v_cmp_lt_u32_e64 s[4:5], 31, v42
	v_cndmask_b32_e64 v3, 0, v23, s[4:5]
	v_add_u32_e32 v50, v3, v42
	v_mov_b32_e32 v3, v49
	v_mad_u64_u32 v[41:42], s[6:7], v41, s38, v[3:4]
	v_cndmask_b32_e32 v3, v47, v45, vcc
	v_cndmask_b32_e32 v49, v48, v46, vcc
	;; [unrolled: 1-line block ×4, first 2 shown]
	v_cndmask_b32_e64 v51, v49, v3, s[2:3]
	v_cndmask_b32_e64 v47, v41, v49, s[2:3]
	v_cndmask_b32_e64 v41, v42, v41, s[2:3]
	v_cndmask_b32_e32 v44, v46, v44, vcc
	v_cndmask_b32_e64 v41, v41, v47, s[4:5]
	v_cndmask_b32_e64 v42, v47, v51, s[4:5]
	v_sub_u32_e32 v47, 32, v50
	v_cndmask_b32_e64 v3, v3, v44, s[2:3]
	v_alignbit_b32 v48, v41, v42, v47
	v_cmp_eq_u32_e64 s[6:7], 0, v50
	v_cndmask_b32_e64 v46, v51, v3, s[4:5]
	v_cndmask_b32_e64 v41, v48, v41, s[6:7]
	v_alignbit_b32 v48, v42, v46, v47
	v_cndmask_b32_e32 v43, v45, v43, vcc
	v_cndmask_b32_e64 v42, v48, v42, s[6:7]
	v_bfe_u32 v50, v41, 29, 1
	v_cndmask_b32_e64 v43, v44, v43, s[2:3]
	v_alignbit_b32 v48, v41, v42, 30
	v_sub_u32_e32 v51, 0, v50
	v_cndmask_b32_e64 v3, v3, v43, s[4:5]
	v_xor_b32_e32 v48, v48, v51
	v_alignbit_b32 v43, v46, v3, v47
	v_cndmask_b32_e64 v43, v43, v46, s[6:7]
	v_ffbh_u32_e32 v44, v48
	v_alignbit_b32 v42, v42, v43, 30
	v_min_u32_e32 v44, 32, v44
	v_alignbit_b32 v3, v43, v3, 30
	v_xor_b32_e32 v42, v42, v51
	v_sub_u32_e32 v45, 31, v44
	v_xor_b32_e32 v3, v3, v51
	v_alignbit_b32 v46, v48, v42, v45
	v_alignbit_b32 v3, v42, v3, v45
	;; [unrolled: 1-line block ×3, first 2 shown]
	v_ffbh_u32_e32 v43, v42
	v_min_u32_e32 v43, 32, v43
	v_lshrrev_b32_e32 v49, 29, v41
	v_not_b32_e32 v45, v43
	v_alignbit_b32 v3, v42, v3, v45
	v_lshlrev_b32_e32 v42, 31, v49
	v_or_b32_e32 v45, 0x33000000, v42
	v_add_lshl_u32 v43, v43, v44, 23
	v_lshrrev_b32_e32 v3, 9, v3
	v_sub_u32_e32 v43, v45, v43
	v_or_b32_e32 v42, 0.5, v42
	v_lshlrev_b32_e32 v44, 23, v44
	v_or_b32_e32 v3, v43, v3
	v_lshrrev_b32_e32 v43, 9, v46
	v_sub_u32_e32 v42, v42, v44
	v_or_b32_e32 v42, v43, v42
	v_mul_f32_e32 v43, 0x3fc90fda, v42
	v_fma_f32 v44, v42, s39, -v43
	v_fmac_f32_e32 v44, 0x33a22168, v42
	v_fmac_f32_e32 v44, 0x3fc90fda, v3
	v_lshrrev_b32_e32 v41, 30, v41
	v_add_f32_e32 v3, v43, v44
	v_add_u32_e32 v43, v50, v41
                                        ; implicit-def: $vgpr44
	s_andn2_saveexec_b64 s[2:3], s[8:9]
	s_cbranch_execnz .LBB0_13
	s_branch .LBB0_14
.LBB0_11:                               ;   in Loop: Header=BB0_4 Depth=1
	v_mov_b32_e32 v35, v3
	v_mov_b32_e32 v29, v34
	s_branch .LBB0_15
.LBB0_12:                               ;   in Loop: Header=BB0_4 Depth=1
	s_andn2_saveexec_b64 s[2:3], s[8:9]
.LBB0_13:                               ;   in Loop: Header=BB0_4 Depth=1
	v_mov_b32_e32 v3, v35
	v_cvt_i32_f32_e32 v43, v44
	v_fmac_f32_e32 v3, 0xbfc90fda, v44
	v_fmac_f32_e32 v3, 0xb3a22168, v44
	;; [unrolled: 1-line block ×3, first 2 shown]
.LBB0_14:                               ;   in Loop: Header=BB0_4 Depth=1
	s_or_b64 exec, exec, s[2:3]
	v_mul_lo_u32 v34, v34, s27
	v_xor_b32_e32 v37, v38, v37
	v_lshlrev_b32_e32 v38, 30, v40
	v_and_b32_e32 v40, 1, v40
	v_add_u32_e32 v34, 0x3c6ef35f, v34
	v_xor_b32_e32 v34, v37, v34
	v_xor_b32_e32 v34, v34, v36
	v_mul_f32_e32 v36, v39, v39
	v_mov_b32_e32 v37, 0x3c0881c4
	v_fmac_f32_e32 v37, 0xb94c1982, v36
	v_cvt_f32_u32_e32 v34, v34
	v_fma_f32 v37, v36, v37, v18
	v_mul_f32_e32 v37, v36, v37
	v_fmac_f32_e32 v39, v39, v37
	v_mov_b32_e32 v37, 0xbab64f3b
	v_fmac_f32_e32 v37, 0x37d75334, v36
	v_mul_f32_e32 v34, 0x2f800000, v34
	v_fma_f32 v37, v36, v37, v19
	v_fma_f32 v37, v36, v37, v20
	v_cmp_gt_f32_e32 vcc, s30, v34
	v_fma_f32 v36, v36, v37, 1.0
	v_cndmask_b32_e64 v37, 0, 32, vcc
	v_ldexp_f32 v34, v34, v37
	v_log_f32_e32 v34, v34
	v_and_b32_e32 v38, 0x80000000, v38
	v_cmp_eq_u32_e64 s[2:3], 0, v40
	v_cndmask_b32_e64 v36, v36, v39, s[2:3]
	v_xor_b32_e32 v37, v38, v35
	v_xor_b32_e32 v36, v37, v36
	v_mul_f32_e32 v37, 0x3f317217, v34
	v_fma_f32 v37, v34, s41, -v37
	v_fmac_f32_e32 v37, 0x3377d1cf, v34
	v_fmac_f32_e32 v37, 0x3f317217, v34
	v_cmp_lt_f32_e64 s[2:3], |v34|, s40
	v_cndmask_b32_e64 v34, v34, v37, s[2:3]
	v_cndmask_b32_e32 v37, 0, v25, vcc
	v_sub_f32_e32 v34, v34, v37
	v_mul_f32_e32 v34, -2.0, v34
	v_mul_f32_e32 v37, 0x4f800000, v34
	v_cmp_gt_f32_e32 vcc, s42, v34
	v_cndmask_b32_e32 v34, v34, v37, vcc
	v_sqrt_f32_e32 v37, v34
	v_xor_b32_e32 v36, v36, v35
	v_cmp_lg_f32_e64 s[2:3], s40, v35
	v_cndmask_b32_e64 v35, v24, v36, s[2:3]
	v_add_u32_e32 v36, -1, v37
	v_fma_f32 v38, -v36, v37, v34
	v_cmp_ge_f32_e64 s[4:5], 0, v38
	v_add_u32_e32 v38, 1, v37
	v_cndmask_b32_e64 v36, v37, v36, s[4:5]
	v_fma_f32 v37, -v38, v37, v34
	v_cmp_lt_f32_e64 s[4:5], 0, v37
	v_cndmask_b32_e64 v36, v36, v38, s[4:5]
	v_mul_f32_e32 v37, 0x37800000, v36
	v_cndmask_b32_e32 v36, v36, v37, vcc
	v_cmp_class_f32_e32 vcc, v34, v21
	v_cndmask_b32_e32 v34, v36, v34, vcc
	v_mul_f32_e32 v36, v3, v3
	v_mov_b32_e32 v37, 0x3c0881c4
	v_fmac_f32_e32 v37, 0xb94c1982, v36
	v_fma_f32 v37, v36, v37, v18
	v_mul_f32_e32 v37, v36, v37
	v_fmac_f32_e32 v3, v3, v37
	v_mov_b32_e32 v37, 0xbab64f3b
	v_fmac_f32_e32 v37, 0x37d75334, v36
	v_fma_f32 v37, v36, v37, v19
	v_fma_f32 v37, v36, v37, v20
	v_fma_f32 v36, v36, v37, 1.0
	v_and_b32_e32 v37, 1, v43
	v_cmp_eq_u32_e32 vcc, 0, v37
	v_cndmask_b32_e64 v3, -v3, v36, vcc
	v_lshlrev_b32_e32 v36, 30, v43
	v_and_b32_e32 v36, 0x80000000, v36
	v_xor_b32_e32 v3, v36, v3
	v_cndmask_b32_e64 v3, v24, v3, s[2:3]
	v_mul_f32_e32 v35, v34, v35
	v_mul_f32_e32 v3, v34, v3
.LBB0_15:                               ;   in Loop: Header=BB0_4 Depth=1
	v_mul_f32_e32 v34, v11, v33
	v_fma_f32 v33, v33, v34, v10
	v_mul_f32_e32 v34, v12, v32
	v_fmac_f32_e32 v33, v32, v34
	v_mul_f32_e32 v32, 0x4f800000, v33
	v_cmp_gt_f32_e32 vcc, s42, v33
	v_cndmask_b32_e32 v32, v33, v32, vcc
	v_sqrt_f32_e32 v33, v32
	s_add_i32 s46, s46, 1
	v_add_u32_e32 v31, 0x400, v31
	s_cmp_lg_u32 s20, s46
	v_add_u32_e32 v34, -1, v33
	v_fma_f32 v36, -v34, v33, v32
	v_cmp_ge_f32_e64 s[2:3], 0, v36
	v_add_u32_e32 v36, 1, v33
	v_cndmask_b32_e64 v34, v33, v34, s[2:3]
	v_fma_f32 v33, -v36, v33, v32
	v_cmp_lt_f32_e64 s[2:3], 0, v33
	v_cndmask_b32_e64 v33, v34, v36, s[2:3]
	v_mul_f32_e32 v34, 0x37800000, v33
	v_cndmask_b32_e32 v33, v33, v34, vcc
	v_cmp_class_f32_e32 vcc, v32, v21
	v_cndmask_b32_e32 v33, v33, v32, vcc
	v_mul_f32_e32 v32, v33, v35
	v_min_f32_e32 v32, 1.0, v32
	v_max_f32_e32 v32, -1.0, v32
	s_waitcnt vmcnt(0)
	v_add_f32_e32 v34, v14, v32
	v_mul_f32_e32 v35, 0x3fb8aa3b, v34
	v_fma_f32 v36, v34, s43, -v35
	v_rndne_f32_e32 v37, v35
	v_fmac_f32_e32 v36, 0x32a5705f, v34
	v_sub_f32_e32 v35, v35, v37
	v_add_f32_e32 v35, v35, v36
	v_exp_f32_e32 v35, v35
	v_cvt_i32_f32_e32 v36, v37
	v_cmp_ngt_f32_e32 vcc, s44, v34
	v_add_u32_e32 v30, 0x100, v30
	v_ldexp_f32 v35, v35, v36
	v_cndmask_b32_e32 v35, 0, v35, vcc
	v_cmp_nlt_f32_e32 vcc, s45, v34
	v_cndmask_b32_e32 v34, v26, v35, vcc
	v_mul_f32_e32 v28, v28, v34
	s_cbranch_scc0 .LBB0_17
; %bb.16:                               ;   in Loop: Header=BB0_4 Depth=1
	v_mov_b32_e32 v34, v29
	s_branch .LBB0_4
.LBB0_17:
	s_andn2_b64 vcc, exec, s[14:15]
	v_mov_b32_e32 v3, 0
	s_cbranch_vccnz .LBB0_20
; %bb.18:
	v_mov_b32_e32 v3, 0
	s_movk_i32 s2, 0xe000
	s_mov_b32 s3, s22
.LBB0_19:                               ; =>This Inner Loop Header: Depth=1
	v_add_u32_e32 v38, s2, v31
	ds_read2st64_b32 v[32:33], v38 offset0:24 offset1:28
	ds_read2st64_b32 v[34:35], v38 offset0:16 offset1:20
	;; [unrolled: 1-line block ×3, first 2 shown]
	ds_read2st64_b32 v[38:39], v38 offset1:4
	s_addk_i32 s2, 0xe000
	s_waitcnt lgkmcnt(3)
	v_sub_f32_e32 v33, v33, v28
	v_sub_f32_e32 v32, v32, v28
	v_max_f32_e32 v33, 0, v33
	s_waitcnt lgkmcnt(2)
	v_sub_f32_e32 v35, v35, v28
	v_max_f32_e32 v32, 0, v32
	v_add_f32_e32 v3, v3, v33
	v_sub_f32_e32 v34, v34, v28
	v_max_f32_e32 v35, 0, v35
	v_add_f32_e32 v3, v3, v32
	s_waitcnt lgkmcnt(1)
	v_sub_f32_e32 v37, v37, v28
	v_max_f32_e32 v34, 0, v34
	v_add_f32_e32 v3, v3, v35
	v_sub_f32_e32 v36, v36, v28
	v_max_f32_e32 v37, 0, v37
	v_add_f32_e32 v3, v3, v34
	;; [unrolled: 7-line block ×3, first 2 shown]
	s_add_i32 s3, s3, -8
	v_max_f32_e32 v38, 0, v38
	v_add_f32_e32 v3, v3, v39
	v_add_u32_e32 v30, 0xfffff800, v30
	s_cmp_lg_u32 s3, 0
	v_add_f32_e32 v3, v3, v38
	s_cbranch_scc1 .LBB0_19
.LBB0_20:
	s_andn2_b64 vcc, exec, s[16:17]
	s_cbranch_vccnz .LBB0_23
; %bb.21:
	v_lshl_add_u32 v30, v30, 2, v27
	s_mov_b32 s2, s21
.LBB0_22:                               ; =>This Inner Loop Header: Depth=1
	ds_read_b32 v31, v30
	s_add_i32 s2, s2, -1
	v_add_u32_e32 v30, 0xfffffc00, v30
	s_cmp_lg_u32 s2, 0
	s_waitcnt lgkmcnt(0)
	v_sub_f32_e32 v31, v31, v28
	v_max_f32_e32 v31, 0, v31
	v_add_f32_e32 v3, v3, v31
	s_cbranch_scc1 .LBB0_22
.LBB0_23:
	v_cvt_f32_u32_e32 v28, s23
	v_sub_f32_e32 v30, v3, v17
	s_add_i32 s23, s23, 1
	s_cmpk_eq_i32 s23, 0x201
	v_div_scale_f32 v31, s[2:3], v28, v28, v30
	v_div_scale_f32 v32, vcc, v30, v28, v30
	v_rcp_f32_e32 v33, v31
	v_fma_f32 v34, -v31, v33, 1.0
	v_fmac_f32_e32 v33, v34, v33
	v_mul_f32_e32 v34, v32, v33
	v_fma_f32 v35, -v31, v34, v32
	v_fmac_f32_e32 v34, v35, v33
	v_fma_f32 v31, -v31, v34, v32
	v_div_fmas_f32 v31, v31, v33, v34
	v_div_fixup_f32 v28, v31, v28, v30
	v_add_f32_e32 v17, v17, v28
	v_sub_f32_e32 v3, v3, v17
	v_fmac_f32_e32 v16, v30, v3
	s_cbranch_scc0 .LBB0_1
; %bb.24:
	s_mov_b32 s2, 0x43ff8000
	v_div_scale_f32 v0, s[0:1], s2, s2, v16
	v_div_scale_f32 v3, vcc, v16, s2, v16
	v_rcp_f32_e32 v4, v0
	v_fma_f32 v5, -v0, v4, 1.0
	v_fmac_f32_e32 v4, v5, v4
	v_mul_f32_e32 v5, v3, v4
	s_waitcnt vmcnt(6)
	v_fma_f32 v6, -v0, v5, v3
	v_fmac_f32_e32 v5, v6, v4
	v_fma_f32 v0, -v0, v5, v3
	v_div_fmas_f32 v0, v0, v4, v5
	v_mov_b32_e32 v4, s11
	v_add_co_u32_e32 v3, vcc, s10, v1
	v_addc_co_u32_e32 v4, vcc, v4, v2, vcc
	v_mov_b32_e32 v5, s13
	global_store_dword v[3:4], v17, off
	v_div_fixup_f32 v3, v0, s2, v16
	v_add_co_u32_e32 v0, vcc, s12, v1
	v_addc_co_u32_e32 v1, vcc, v5, v2, vcc
	global_store_dword v[0:1], v3, off
	s_endpgm
	.section	.rodata,"a",@progbits
	.p2align	6, 0x0
	.amdhsa_kernel _Z19tausworthe_lookbackjPKjPfS1_PKfS3_S3_S3_S3_S3_S3_
		.amdhsa_group_segment_fixed_size 15360
		.amdhsa_private_segment_fixed_size 0
		.amdhsa_kernarg_size 344
		.amdhsa_user_sgpr_count 6
		.amdhsa_user_sgpr_private_segment_buffer 1
		.amdhsa_user_sgpr_dispatch_ptr 0
		.amdhsa_user_sgpr_queue_ptr 0
		.amdhsa_user_sgpr_kernarg_segment_ptr 1
		.amdhsa_user_sgpr_dispatch_id 0
		.amdhsa_user_sgpr_flat_scratch_init 0
		.amdhsa_user_sgpr_private_segment_size 0
		.amdhsa_uses_dynamic_stack 0
		.amdhsa_system_sgpr_private_segment_wavefront_offset 0
		.amdhsa_system_sgpr_workgroup_id_x 1
		.amdhsa_system_sgpr_workgroup_id_y 0
		.amdhsa_system_sgpr_workgroup_id_z 0
		.amdhsa_system_sgpr_workgroup_info 0
		.amdhsa_system_vgpr_workitem_id 0
		.amdhsa_next_free_vgpr 52
		.amdhsa_next_free_sgpr 61
		.amdhsa_reserve_vcc 1
		.amdhsa_reserve_flat_scratch 0
		.amdhsa_float_round_mode_32 0
		.amdhsa_float_round_mode_16_64 0
		.amdhsa_float_denorm_mode_32 3
		.amdhsa_float_denorm_mode_16_64 3
		.amdhsa_dx10_clamp 1
		.amdhsa_ieee_mode 1
		.amdhsa_fp16_overflow 0
		.amdhsa_exception_fp_ieee_invalid_op 0
		.amdhsa_exception_fp_denorm_src 0
		.amdhsa_exception_fp_ieee_div_zero 0
		.amdhsa_exception_fp_ieee_overflow 0
		.amdhsa_exception_fp_ieee_underflow 0
		.amdhsa_exception_fp_ieee_inexact 0
		.amdhsa_exception_int_div_zero 0
	.end_amdhsa_kernel
	.text
.Lfunc_end0:
	.size	_Z19tausworthe_lookbackjPKjPfS1_PKfS3_S3_S3_S3_S3_S3_, .Lfunc_end0-_Z19tausworthe_lookbackjPKjPfS1_PKfS3_S3_S3_S3_S3_S3_
                                        ; -- End function
	.set _Z19tausworthe_lookbackjPKjPfS1_PKfS3_S3_S3_S3_S3_S3_.num_vgpr, 52
	.set _Z19tausworthe_lookbackjPKjPfS1_PKfS3_S3_S3_S3_S3_S3_.num_agpr, 0
	.set _Z19tausworthe_lookbackjPKjPfS1_PKfS3_S3_S3_S3_S3_S3_.numbered_sgpr, 47
	.set _Z19tausworthe_lookbackjPKjPfS1_PKfS3_S3_S3_S3_S3_S3_.num_named_barrier, 0
	.set _Z19tausworthe_lookbackjPKjPfS1_PKfS3_S3_S3_S3_S3_S3_.private_seg_size, 0
	.set _Z19tausworthe_lookbackjPKjPfS1_PKfS3_S3_S3_S3_S3_S3_.uses_vcc, 1
	.set _Z19tausworthe_lookbackjPKjPfS1_PKfS3_S3_S3_S3_S3_S3_.uses_flat_scratch, 0
	.set _Z19tausworthe_lookbackjPKjPfS1_PKfS3_S3_S3_S3_S3_S3_.has_dyn_sized_stack, 0
	.set _Z19tausworthe_lookbackjPKjPfS1_PKfS3_S3_S3_S3_S3_S3_.has_recursion, 0
	.set _Z19tausworthe_lookbackjPKjPfS1_PKfS3_S3_S3_S3_S3_S3_.has_indirect_call, 0
	.section	.AMDGPU.csdata,"",@progbits
; Kernel info:
; codeLenInByte = 3324
; TotalNumSgprs: 51
; NumVgprs: 52
; ScratchSize: 0
; MemoryBound: 0
; FloatMode: 240
; IeeeMode: 1
; LDSByteSize: 15360 bytes/workgroup (compile time only)
; SGPRBlocks: 8
; VGPRBlocks: 12
; NumSGPRsForWavesPerEU: 65
; NumVGPRsForWavesPerEU: 52
; Occupancy: 4
; WaveLimiterHint : 0
; COMPUTE_PGM_RSRC2:SCRATCH_EN: 0
; COMPUTE_PGM_RSRC2:USER_SGPR: 6
; COMPUTE_PGM_RSRC2:TRAP_HANDLER: 0
; COMPUTE_PGM_RSRC2:TGID_X_EN: 1
; COMPUTE_PGM_RSRC2:TGID_Y_EN: 0
; COMPUTE_PGM_RSRC2:TGID_Z_EN: 0
; COMPUTE_PGM_RSRC2:TIDIG_COMP_CNT: 0
	.section	.AMDGPU.gpr_maximums,"",@progbits
	.set amdgpu.max_num_vgpr, 0
	.set amdgpu.max_num_agpr, 0
	.set amdgpu.max_num_sgpr, 0
	.section	.AMDGPU.csdata,"",@progbits
	.type	__hip_cuid_18723588fd3ebc76,@object ; @__hip_cuid_18723588fd3ebc76
	.section	.bss,"aw",@nobits
	.globl	__hip_cuid_18723588fd3ebc76
__hip_cuid_18723588fd3ebc76:
	.byte	0                               ; 0x0
	.size	__hip_cuid_18723588fd3ebc76, 1

	.ident	"AMD clang version 22.0.0git (https://github.com/RadeonOpenCompute/llvm-project roc-7.2.4 26084 f58b06dce1f9c15707c5f808fd002e18c2accf7e)"
	.section	".note.GNU-stack","",@progbits
	.addrsig
	.addrsig_sym __hip_cuid_18723588fd3ebc76
	.amdgpu_metadata
---
amdhsa.kernels:
  - .args:
      - .offset:         0
        .size:           4
        .value_kind:     by_value
      - .actual_access:  read_only
        .address_space:  global
        .offset:         8
        .size:           8
        .value_kind:     global_buffer
      - .actual_access:  write_only
        .address_space:  global
        .offset:         16
        .size:           8
        .value_kind:     global_buffer
      - .actual_access:  write_only
        .address_space:  global
        .offset:         24
        .size:           8
        .value_kind:     global_buffer
      - .actual_access:  read_only
        .address_space:  global
        .offset:         32
        .size:           8
        .value_kind:     global_buffer
      - .actual_access:  read_only
        .address_space:  global
        .offset:         40
        .size:           8
        .value_kind:     global_buffer
      - .actual_access:  read_only
        .address_space:  global
        .offset:         48
        .size:           8
        .value_kind:     global_buffer
      - .actual_access:  read_only
        .address_space:  global
        .offset:         56
        .size:           8
        .value_kind:     global_buffer
      - .actual_access:  read_only
        .address_space:  global
        .offset:         64
        .size:           8
        .value_kind:     global_buffer
      - .actual_access:  read_only
        .address_space:  global
        .offset:         72
        .size:           8
        .value_kind:     global_buffer
      - .actual_access:  read_only
        .address_space:  global
        .offset:         80
        .size:           8
        .value_kind:     global_buffer
      - .offset:         88
        .size:           4
        .value_kind:     hidden_block_count_x
      - .offset:         92
        .size:           4
        .value_kind:     hidden_block_count_y
      - .offset:         96
        .size:           4
        .value_kind:     hidden_block_count_z
      - .offset:         100
        .size:           2
        .value_kind:     hidden_group_size_x
      - .offset:         102
        .size:           2
        .value_kind:     hidden_group_size_y
      - .offset:         104
        .size:           2
        .value_kind:     hidden_group_size_z
      - .offset:         106
        .size:           2
        .value_kind:     hidden_remainder_x
      - .offset:         108
        .size:           2
        .value_kind:     hidden_remainder_y
      - .offset:         110
        .size:           2
        .value_kind:     hidden_remainder_z
      - .offset:         128
        .size:           8
        .value_kind:     hidden_global_offset_x
      - .offset:         136
        .size:           8
        .value_kind:     hidden_global_offset_y
      - .offset:         144
        .size:           8
        .value_kind:     hidden_global_offset_z
      - .offset:         152
        .size:           2
        .value_kind:     hidden_grid_dims
    .group_segment_fixed_size: 15360
    .kernarg_segment_align: 8
    .kernarg_segment_size: 344
    .language:       OpenCL C
    .language_version:
      - 2
      - 0
    .max_flat_workgroup_size: 1024
    .name:           _Z19tausworthe_lookbackjPKjPfS1_PKfS3_S3_S3_S3_S3_S3_
    .private_segment_fixed_size: 0
    .sgpr_count:     51
    .sgpr_spill_count: 0
    .symbol:         _Z19tausworthe_lookbackjPKjPfS1_PKfS3_S3_S3_S3_S3_S3_.kd
    .uniform_work_group_size: 1
    .uses_dynamic_stack: false
    .vgpr_count:     52
    .vgpr_spill_count: 0
    .wavefront_size: 64
amdhsa.target:   amdgcn-amd-amdhsa--gfx906
amdhsa.version:
  - 1
  - 2
...

	.end_amdgpu_metadata
